;; amdgpu-corpus repo=ROCm/rocFFT kind=compiled arch=gfx1201 opt=O3
	.text
	.amdgcn_target "amdgcn-amd-amdhsa--gfx1201"
	.amdhsa_code_object_version 6
	.protected	fft_rtc_fwd_len605_factors_11_5_11_wgs_55_tpt_55_dp_op_CI_CI_unitstride_sbrr_dirReg ; -- Begin function fft_rtc_fwd_len605_factors_11_5_11_wgs_55_tpt_55_dp_op_CI_CI_unitstride_sbrr_dirReg
	.globl	fft_rtc_fwd_len605_factors_11_5_11_wgs_55_tpt_55_dp_op_CI_CI_unitstride_sbrr_dirReg
	.p2align	8
	.type	fft_rtc_fwd_len605_factors_11_5_11_wgs_55_tpt_55_dp_op_CI_CI_unitstride_sbrr_dirReg,@function
fft_rtc_fwd_len605_factors_11_5_11_wgs_55_tpt_55_dp_op_CI_CI_unitstride_sbrr_dirReg: ; @fft_rtc_fwd_len605_factors_11_5_11_wgs_55_tpt_55_dp_op_CI_CI_unitstride_sbrr_dirReg
; %bb.0:
	s_clause 0x2
	s_load_b128 s[8:11], s[0:1], 0x0
	s_load_b128 s[4:7], s[0:1], 0x58
	;; [unrolled: 1-line block ×3, first 2 shown]
	v_mul_u32_u24_e32 v1, 0x4a8, v0
	v_mov_b32_e32 v4, 0
	v_mov_b32_e32 v5, 0
	s_delay_alu instid0(VALU_DEP_3) | instskip(NEXT) | instid1(VALU_DEP_1)
	v_lshrrev_b32_e32 v2, 16, v1
	v_dual_mov_b32 v1, 0 :: v_dual_add_nc_u32 v6, ttmp9, v2
	s_delay_alu instid0(VALU_DEP_1) | instskip(SKIP_2) | instid1(VALU_DEP_1)
	v_mov_b32_e32 v7, v1
	s_wait_kmcnt 0x0
	v_cmp_lt_u64_e64 s2, s[10:11], 2
	s_and_b32 vcc_lo, exec_lo, s2
	s_cbranch_vccnz .LBB0_8
; %bb.1:
	s_load_b64 s[2:3], s[0:1], 0x10
	v_mov_b32_e32 v4, 0
	v_mov_b32_e32 v5, 0
	s_add_nc_u64 s[16:17], s[14:15], 8
	s_add_nc_u64 s[18:19], s[12:13], 8
	s_mov_b64 s[20:21], 1
	s_delay_alu instid0(VALU_DEP_1)
	v_dual_mov_b32 v61, v5 :: v_dual_mov_b32 v60, v4
	s_wait_kmcnt 0x0
	s_add_nc_u64 s[22:23], s[2:3], 8
	s_mov_b32 s3, 0
.LBB0_2:                                ; =>This Inner Loop Header: Depth=1
	s_load_b64 s[24:25], s[22:23], 0x0
                                        ; implicit-def: $vgpr62_vgpr63
	s_mov_b32 s2, exec_lo
	s_wait_kmcnt 0x0
	v_or_b32_e32 v2, s25, v7
	s_delay_alu instid0(VALU_DEP_1)
	v_cmpx_ne_u64_e32 0, v[1:2]
	s_wait_alu 0xfffe
	s_xor_b32 s26, exec_lo, s2
	s_cbranch_execz .LBB0_4
; %bb.3:                                ;   in Loop: Header=BB0_2 Depth=1
	s_cvt_f32_u32 s2, s24
	s_cvt_f32_u32 s27, s25
	s_sub_nc_u64 s[30:31], 0, s[24:25]
	s_wait_alu 0xfffe
	s_delay_alu instid0(SALU_CYCLE_1) | instskip(SKIP_1) | instid1(SALU_CYCLE_2)
	s_fmamk_f32 s2, s27, 0x4f800000, s2
	s_wait_alu 0xfffe
	v_s_rcp_f32 s2, s2
	s_delay_alu instid0(TRANS32_DEP_1) | instskip(SKIP_1) | instid1(SALU_CYCLE_2)
	s_mul_f32 s2, s2, 0x5f7ffffc
	s_wait_alu 0xfffe
	s_mul_f32 s27, s2, 0x2f800000
	s_wait_alu 0xfffe
	s_delay_alu instid0(SALU_CYCLE_2) | instskip(SKIP_1) | instid1(SALU_CYCLE_2)
	s_trunc_f32 s27, s27
	s_wait_alu 0xfffe
	s_fmamk_f32 s2, s27, 0xcf800000, s2
	s_cvt_u32_f32 s29, s27
	s_wait_alu 0xfffe
	s_delay_alu instid0(SALU_CYCLE_1) | instskip(SKIP_1) | instid1(SALU_CYCLE_2)
	s_cvt_u32_f32 s28, s2
	s_wait_alu 0xfffe
	s_mul_u64 s[34:35], s[30:31], s[28:29]
	s_wait_alu 0xfffe
	s_mul_hi_u32 s37, s28, s35
	s_mul_i32 s36, s28, s35
	s_mul_hi_u32 s2, s28, s34
	s_mul_i32 s33, s29, s34
	s_wait_alu 0xfffe
	s_add_nc_u64 s[36:37], s[2:3], s[36:37]
	s_mul_hi_u32 s27, s29, s34
	s_mul_hi_u32 s38, s29, s35
	s_add_co_u32 s2, s36, s33
	s_wait_alu 0xfffe
	s_add_co_ci_u32 s2, s37, s27
	s_mul_i32 s34, s29, s35
	s_add_co_ci_u32 s35, s38, 0
	s_wait_alu 0xfffe
	s_add_nc_u64 s[34:35], s[2:3], s[34:35]
	s_wait_alu 0xfffe
	v_add_co_u32 v2, s2, s28, s34
	s_delay_alu instid0(VALU_DEP_1) | instskip(SKIP_1) | instid1(VALU_DEP_1)
	s_cmp_lg_u32 s2, 0
	s_add_co_ci_u32 s29, s29, s35
	v_readfirstlane_b32 s28, v2
	s_wait_alu 0xfffe
	s_delay_alu instid0(VALU_DEP_1)
	s_mul_u64 s[30:31], s[30:31], s[28:29]
	s_wait_alu 0xfffe
	s_mul_hi_u32 s35, s28, s31
	s_mul_i32 s34, s28, s31
	s_mul_hi_u32 s2, s28, s30
	s_mul_i32 s33, s29, s30
	s_wait_alu 0xfffe
	s_add_nc_u64 s[34:35], s[2:3], s[34:35]
	s_mul_hi_u32 s27, s29, s30
	s_mul_hi_u32 s28, s29, s31
	s_wait_alu 0xfffe
	s_add_co_u32 s2, s34, s33
	s_add_co_ci_u32 s2, s35, s27
	s_mul_i32 s30, s29, s31
	s_add_co_ci_u32 s31, s28, 0
	s_wait_alu 0xfffe
	s_add_nc_u64 s[30:31], s[2:3], s[30:31]
	s_wait_alu 0xfffe
	v_add_co_u32 v8, s2, v2, s30
	s_delay_alu instid0(VALU_DEP_1) | instskip(SKIP_1) | instid1(VALU_DEP_1)
	s_cmp_lg_u32 s2, 0
	s_add_co_ci_u32 s2, s29, s31
	v_mul_hi_u32 v12, v6, v8
	s_wait_alu 0xfffe
	v_mad_co_u64_u32 v[2:3], null, v6, s2, 0
	v_mad_co_u64_u32 v[8:9], null, v7, v8, 0
	;; [unrolled: 1-line block ×3, first 2 shown]
	s_delay_alu instid0(VALU_DEP_3) | instskip(SKIP_1) | instid1(VALU_DEP_4)
	v_add_co_u32 v2, vcc_lo, v12, v2
	s_wait_alu 0xfffd
	v_add_co_ci_u32_e32 v3, vcc_lo, 0, v3, vcc_lo
	s_delay_alu instid0(VALU_DEP_2) | instskip(SKIP_1) | instid1(VALU_DEP_2)
	v_add_co_u32 v2, vcc_lo, v2, v8
	s_wait_alu 0xfffd
	v_add_co_ci_u32_e32 v2, vcc_lo, v3, v9, vcc_lo
	s_wait_alu 0xfffd
	v_add_co_ci_u32_e32 v3, vcc_lo, 0, v11, vcc_lo
	s_delay_alu instid0(VALU_DEP_2) | instskip(SKIP_1) | instid1(VALU_DEP_2)
	v_add_co_u32 v8, vcc_lo, v2, v10
	s_wait_alu 0xfffd
	v_add_co_ci_u32_e32 v9, vcc_lo, 0, v3, vcc_lo
	s_delay_alu instid0(VALU_DEP_2) | instskip(SKIP_1) | instid1(VALU_DEP_3)
	v_mul_lo_u32 v10, s25, v8
	v_mad_co_u64_u32 v[2:3], null, s24, v8, 0
	v_mul_lo_u32 v11, s24, v9
	s_delay_alu instid0(VALU_DEP_2) | instskip(NEXT) | instid1(VALU_DEP_2)
	v_sub_co_u32 v2, vcc_lo, v6, v2
	v_add3_u32 v3, v3, v11, v10
	s_delay_alu instid0(VALU_DEP_1) | instskip(SKIP_1) | instid1(VALU_DEP_1)
	v_sub_nc_u32_e32 v10, v7, v3
	s_wait_alu 0xfffd
	v_subrev_co_ci_u32_e64 v10, s2, s25, v10, vcc_lo
	v_add_co_u32 v11, s2, v8, 2
	s_wait_alu 0xf1ff
	v_add_co_ci_u32_e64 v12, s2, 0, v9, s2
	v_sub_co_u32 v13, s2, v2, s24
	v_sub_co_ci_u32_e32 v3, vcc_lo, v7, v3, vcc_lo
	s_wait_alu 0xf1ff
	v_subrev_co_ci_u32_e64 v10, s2, 0, v10, s2
	s_delay_alu instid0(VALU_DEP_3) | instskip(NEXT) | instid1(VALU_DEP_3)
	v_cmp_le_u32_e32 vcc_lo, s24, v13
	v_cmp_eq_u32_e64 s2, s25, v3
	s_wait_alu 0xfffd
	v_cndmask_b32_e64 v13, 0, -1, vcc_lo
	v_cmp_le_u32_e32 vcc_lo, s25, v10
	s_wait_alu 0xfffd
	v_cndmask_b32_e64 v14, 0, -1, vcc_lo
	v_cmp_le_u32_e32 vcc_lo, s24, v2
	;; [unrolled: 3-line block ×3, first 2 shown]
	s_wait_alu 0xfffd
	v_cndmask_b32_e64 v15, 0, -1, vcc_lo
	v_cmp_eq_u32_e32 vcc_lo, s25, v10
	s_wait_alu 0xf1ff
	s_delay_alu instid0(VALU_DEP_2)
	v_cndmask_b32_e64 v2, v15, v2, s2
	s_wait_alu 0xfffd
	v_cndmask_b32_e32 v10, v14, v13, vcc_lo
	v_add_co_u32 v13, vcc_lo, v8, 1
	s_wait_alu 0xfffd
	v_add_co_ci_u32_e32 v14, vcc_lo, 0, v9, vcc_lo
	s_delay_alu instid0(VALU_DEP_3) | instskip(SKIP_1) | instid1(VALU_DEP_2)
	v_cmp_ne_u32_e32 vcc_lo, 0, v10
	s_wait_alu 0xfffd
	v_dual_cndmask_b32 v3, v14, v12 :: v_dual_cndmask_b32 v10, v13, v11
	v_cmp_ne_u32_e32 vcc_lo, 0, v2
	s_wait_alu 0xfffd
	s_delay_alu instid0(VALU_DEP_2)
	v_dual_cndmask_b32 v63, v9, v3 :: v_dual_cndmask_b32 v62, v8, v10
.LBB0_4:                                ;   in Loop: Header=BB0_2 Depth=1
	s_wait_alu 0xfffe
	s_and_not1_saveexec_b32 s2, s26
	s_cbranch_execz .LBB0_6
; %bb.5:                                ;   in Loop: Header=BB0_2 Depth=1
	v_cvt_f32_u32_e32 v2, s24
	s_sub_co_i32 s26, 0, s24
	v_mov_b32_e32 v63, v1
	s_delay_alu instid0(VALU_DEP_2) | instskip(NEXT) | instid1(TRANS32_DEP_1)
	v_rcp_iflag_f32_e32 v2, v2
	v_mul_f32_e32 v2, 0x4f7ffffe, v2
	s_delay_alu instid0(VALU_DEP_1) | instskip(SKIP_1) | instid1(VALU_DEP_1)
	v_cvt_u32_f32_e32 v2, v2
	s_wait_alu 0xfffe
	v_mul_lo_u32 v3, s26, v2
	s_delay_alu instid0(VALU_DEP_1) | instskip(NEXT) | instid1(VALU_DEP_1)
	v_mul_hi_u32 v3, v2, v3
	v_add_nc_u32_e32 v2, v2, v3
	s_delay_alu instid0(VALU_DEP_1) | instskip(NEXT) | instid1(VALU_DEP_1)
	v_mul_hi_u32 v2, v6, v2
	v_mul_lo_u32 v3, v2, s24
	v_add_nc_u32_e32 v8, 1, v2
	s_delay_alu instid0(VALU_DEP_2) | instskip(NEXT) | instid1(VALU_DEP_1)
	v_sub_nc_u32_e32 v3, v6, v3
	v_subrev_nc_u32_e32 v9, s24, v3
	v_cmp_le_u32_e32 vcc_lo, s24, v3
	s_wait_alu 0xfffd
	s_delay_alu instid0(VALU_DEP_2) | instskip(NEXT) | instid1(VALU_DEP_1)
	v_dual_cndmask_b32 v3, v3, v9 :: v_dual_cndmask_b32 v2, v2, v8
	v_cmp_le_u32_e32 vcc_lo, s24, v3
	s_delay_alu instid0(VALU_DEP_2) | instskip(SKIP_1) | instid1(VALU_DEP_1)
	v_add_nc_u32_e32 v8, 1, v2
	s_wait_alu 0xfffd
	v_cndmask_b32_e32 v62, v2, v8, vcc_lo
.LBB0_6:                                ;   in Loop: Header=BB0_2 Depth=1
	s_wait_alu 0xfffe
	s_or_b32 exec_lo, exec_lo, s2
	v_mul_lo_u32 v8, v63, s24
	s_delay_alu instid0(VALU_DEP_2)
	v_mul_lo_u32 v9, v62, s25
	s_load_b64 s[26:27], s[18:19], 0x0
	v_mad_co_u64_u32 v[2:3], null, v62, s24, 0
	s_load_b64 s[24:25], s[16:17], 0x0
	s_add_nc_u64 s[20:21], s[20:21], 1
	s_add_nc_u64 s[16:17], s[16:17], 8
	s_wait_alu 0xfffe
	v_cmp_ge_u64_e64 s2, s[20:21], s[10:11]
	s_add_nc_u64 s[18:19], s[18:19], 8
	s_add_nc_u64 s[22:23], s[22:23], 8
	v_add3_u32 v3, v3, v9, v8
	v_sub_co_u32 v2, vcc_lo, v6, v2
	s_wait_alu 0xfffd
	s_delay_alu instid0(VALU_DEP_2) | instskip(SKIP_2) | instid1(VALU_DEP_1)
	v_sub_co_ci_u32_e32 v3, vcc_lo, v7, v3, vcc_lo
	s_and_b32 vcc_lo, exec_lo, s2
	s_wait_kmcnt 0x0
	v_mul_lo_u32 v6, s26, v3
	v_mul_lo_u32 v7, s27, v2
	v_mad_co_u64_u32 v[4:5], null, s26, v2, v[4:5]
	v_mul_lo_u32 v3, s24, v3
	v_mul_lo_u32 v8, s25, v2
	v_mad_co_u64_u32 v[60:61], null, s24, v2, v[60:61]
	s_delay_alu instid0(VALU_DEP_4) | instskip(NEXT) | instid1(VALU_DEP_2)
	v_add3_u32 v5, v7, v5, v6
	v_add3_u32 v61, v8, v61, v3
	s_wait_alu 0xfffe
	s_cbranch_vccnz .LBB0_9
; %bb.7:                                ;   in Loop: Header=BB0_2 Depth=1
	v_dual_mov_b32 v6, v62 :: v_dual_mov_b32 v7, v63
	s_branch .LBB0_2
.LBB0_8:
	v_dual_mov_b32 v61, v5 :: v_dual_mov_b32 v60, v4
	v_dual_mov_b32 v63, v7 :: v_dual_mov_b32 v62, v6
.LBB0_9:
	s_load_b64 s[0:1], s[0:1], 0x28
	v_mul_hi_u32 v1, 0x4a7904b, v0
	s_lshl_b64 s[10:11], s[10:11], 3
                                        ; implicit-def: $sgpr2_sgpr3
                                        ; implicit-def: $vgpr66
	s_wait_kmcnt 0x0
	v_cmp_gt_u64_e32 vcc_lo, s[0:1], v[62:63]
	v_cmp_le_u64_e64 s0, s[0:1], v[62:63]
	s_delay_alu instid0(VALU_DEP_1)
	s_and_saveexec_b32 s1, s0
	s_wait_alu 0xfffe
	s_xor_b32 s0, exec_lo, s1
; %bb.10:
	v_mul_u32_u24_e32 v1, 55, v1
	s_mov_b64 s[2:3], 0
                                        ; implicit-def: $vgpr4_vgpr5
	s_delay_alu instid0(VALU_DEP_1)
	v_sub_nc_u32_e32 v66, v0, v1
                                        ; implicit-def: $vgpr1
                                        ; implicit-def: $vgpr0
; %bb.11:
	s_wait_alu 0xfffe
	s_or_saveexec_b32 s1, s0
	v_dual_mov_b32 v65, s3 :: v_dual_mov_b32 v64, s2
	s_add_nc_u64 s[2:3], s[14:15], s[10:11]
                                        ; implicit-def: $vgpr2_vgpr3
                                        ; implicit-def: $vgpr6_vgpr7
                                        ; implicit-def: $vgpr10_vgpr11
                                        ; implicit-def: $vgpr18_vgpr19
                                        ; implicit-def: $vgpr22_vgpr23
                                        ; implicit-def: $vgpr26_vgpr27
                                        ; implicit-def: $vgpr30_vgpr31
                                        ; implicit-def: $vgpr34_vgpr35
                                        ; implicit-def: $vgpr38_vgpr39
                                        ; implicit-def: $vgpr42_vgpr43
                                        ; implicit-def: $vgpr14_vgpr15
	s_wait_alu 0xfffe
	s_xor_b32 exec_lo, exec_lo, s1
	s_cbranch_execz .LBB0_13
; %bb.12:
	s_add_nc_u64 s[10:11], s[12:13], s[10:11]
	v_mov_b32_e32 v67, 0
	s_load_b64 s[10:11], s[10:11], 0x0
	s_wait_kmcnt 0x0
	v_mul_lo_u32 v6, s11, v62
	v_mul_lo_u32 v7, s10, v63
	v_mad_co_u64_u32 v[2:3], null, s10, v62, 0
	s_delay_alu instid0(VALU_DEP_1) | instskip(SKIP_1) | instid1(VALU_DEP_2)
	v_add3_u32 v3, v3, v7, v6
	v_mul_u32_u24_e32 v6, 55, v1
	v_lshlrev_b64_e32 v[1:2], 4, v[2:3]
	v_lshlrev_b64_e32 v[3:4], 4, v[4:5]
	s_delay_alu instid0(VALU_DEP_3) | instskip(NEXT) | instid1(VALU_DEP_3)
	v_sub_nc_u32_e32 v66, v0, v6
	v_add_co_u32 v0, s0, s4, v1
	s_wait_alu 0xf1ff
	s_delay_alu instid0(VALU_DEP_4) | instskip(NEXT) | instid1(VALU_DEP_3)
	v_add_co_ci_u32_e64 v1, s0, s5, v2, s0
	v_lshlrev_b32_e32 v2, 4, v66
	s_delay_alu instid0(VALU_DEP_3) | instskip(SKIP_1) | instid1(VALU_DEP_3)
	v_add_co_u32 v0, s0, v0, v3
	s_wait_alu 0xf1ff
	v_add_co_ci_u32_e64 v1, s0, v1, v4, s0
	v_dual_mov_b32 v64, v66 :: v_dual_mov_b32 v65, v67
	s_delay_alu instid0(VALU_DEP_3) | instskip(SKIP_1) | instid1(VALU_DEP_3)
	v_add_co_u32 v0, s0, v0, v2
	s_wait_alu 0xf1ff
	v_add_co_ci_u32_e64 v1, s0, 0, v1, s0
	s_clause 0xa
	global_load_b128 v[12:15], v[0:1], off
	global_load_b128 v[40:43], v[0:1], off offset:880
	global_load_b128 v[36:39], v[0:1], off offset:1760
	;; [unrolled: 1-line block ×10, first 2 shown]
.LBB0_13:
	s_or_b32 exec_lo, exec_lo, s1
	s_wait_loadcnt 0x9
	v_add_f64_e32 v[44:45], v[40:41], v[12:13]
	v_add_f64_e32 v[46:47], v[42:43], v[14:15]
	s_wait_loadcnt 0x0
	v_add_f64_e32 v[50:51], v[0:1], v[40:41]
	v_add_f64_e64 v[52:53], v[40:41], -v[0:1]
	v_add_f64_e32 v[69:70], v[8:9], v[32:33]
	v_add_f64_e32 v[71:72], v[10:11], v[34:35]
	v_add_f64_e64 v[73:74], v[32:33], -v[8:9]
	v_add_f64_e64 v[75:76], v[34:35], -v[10:11]
	s_mov_b32 s14, 0xf8bb580b
	s_mov_b32 s4, 0xd9c712b6
	;; [unrolled: 1-line block ×12, first 2 shown]
	s_wait_alu 0xfffe
	s_mov_b32 s16, s10
	s_mov_b32 s1, 0x3feaeb8c
	;; [unrolled: 1-line block ×8, first 2 shown]
	v_add_f64_e32 v[40:41], v[2:3], v[42:43]
	v_add_f64_e64 v[42:43], v[42:43], -v[2:3]
	s_mov_b32 s25, 0xbfe4f49e
	s_mov_b32 s27, 0x3fe82f19
	;; [unrolled: 1-line block ×3, first 2 shown]
	v_add_f64_e32 v[54:55], v[4:5], v[36:37]
	s_mov_b32 s30, 0x9bcd5057
	s_mov_b32 s34, 0xfd768dbf
	v_add_f64_e64 v[67:68], v[36:37], -v[4:5]
	s_wait_alu 0xfffe
	s_mov_b32 s28, s26
	v_add_f64_e32 v[56:57], v[36:37], v[44:45]
	v_add_f64_e32 v[58:59], v[38:39], v[46:47]
	v_mul_f64_e32 v[91:92], s[4:5], v[50:51]
	v_mul_f64_e32 v[89:90], s[18:19], v[52:53]
	;; [unrolled: 1-line block ×3, first 2 shown]
	s_mov_b32 s31, 0xbfeeb42a
	s_mov_b32 s35, 0x3fd207e7
	;; [unrolled: 1-line block ×4, first 2 shown]
	v_mul_f64_e32 v[87:88], s[0:1], v[50:51]
	v_mul_f64_e32 v[95:96], s[12:13], v[50:51]
	;; [unrolled: 1-line block ×4, first 2 shown]
	s_wait_alu 0xfffe
	v_mul_f64_e32 v[101:102], s[28:29], v[52:53]
	v_mul_f64_e32 v[50:51], s[30:31], v[50:51]
	;; [unrolled: 1-line block ×3, first 2 shown]
	v_add_f64_e32 v[77:78], v[16:17], v[28:29]
	v_add_f64_e32 v[46:47], v[18:19], v[30:31]
	v_add_f64_e64 v[79:80], v[28:29], -v[16:17]
	v_add_f64_e64 v[48:49], v[30:31], -v[18:19]
	v_add_f64_e32 v[85:86], v[6:7], v[38:39]
	v_add_f64_e64 v[38:39], v[38:39], -v[6:7]
	v_add_f64_e32 v[81:82], v[20:21], v[24:25]
	v_add_f64_e32 v[36:37], v[22:23], v[26:27]
	v_add_f64_e64 v[83:84], v[24:25], -v[20:21]
	v_add_f64_e64 v[44:45], v[26:27], -v[22:23]
	v_mul_f64_e32 v[117:118], s[30:31], v[69:70]
	v_mul_f64_e32 v[125:126], s[34:35], v[73:74]
	;; [unrolled: 1-line block ×12, first 2 shown]
	v_add_f64_e32 v[32:33], v[32:33], v[56:57]
	v_add_f64_e32 v[34:35], v[34:35], v[58:59]
	v_mul_f64_e32 v[58:59], s[28:29], v[67:68]
	v_fma_f64 v[161:162], v[40:41], s[0:1], v[89:90]
	v_mul_f64_e32 v[56:57], s[16:17], v[67:68]
	v_mul_f64_e32 v[111:112], s[34:35], v[67:68]
	;; [unrolled: 1-line block ×5, first 2 shown]
	v_fma_f64 v[159:160], v[42:43], s[14:15], v[87:88]
	v_fma_f64 v[87:88], v[42:43], s[18:19], v[87:88]
	;; [unrolled: 1-line block ×9, first 2 shown]
	v_fma_f64 v[97:98], v[40:41], s[12:13], -v[97:98]
	v_fma_f64 v[101:102], v[40:41], s[24:25], -v[101:102]
	v_mul_f64_e32 v[129:130], s[18:19], v[73:74]
	v_mul_f64_e32 v[73:74], s[28:29], v[73:74]
	;; [unrolled: 1-line block ×10, first 2 shown]
	v_fma_f64 v[189:190], v[75:76], s[14:15], v[121:122]
	v_fma_f64 v[121:122], v[75:76], s[18:19], v[121:122]
	;; [unrolled: 1-line block ×8, first 2 shown]
	v_add_f64_e32 v[28:29], v[28:29], v[32:33]
	v_add_f64_e32 v[30:31], v[30:31], v[34:35]
	v_fma_f64 v[32:33], v[40:41], s[0:1], -v[89:90]
	v_fma_f64 v[34:35], v[42:43], s[10:11], v[91:92]
	v_fma_f64 v[89:90], v[40:41], s[4:5], v[93:94]
	;; [unrolled: 1-line block ×5, first 2 shown]
	v_fma_f64 v[93:94], v[40:41], s[4:5], -v[93:94]
	v_fma_f64 v[40:41], v[40:41], s[30:31], -v[52:53]
	v_fma_f64 v[181:182], v[85:86], s[24:25], v[58:59]
	v_fma_f64 v[52:53], v[38:39], s[10:11], v[103:104]
	;; [unrolled: 1-line block ×7, first 2 shown]
	v_fma_f64 v[56:57], v[85:86], s[4:5], -v[56:57]
	v_fma_f64 v[183:184], v[85:86], s[30:31], v[111:112]
	v_add_f64_e32 v[159:160], v[12:13], v[159:160]
	v_add_f64_e32 v[87:88], v[12:13], v[87:88]
	;; [unrolled: 1-line block ×4, first 2 shown]
	v_fma_f64 v[185:186], v[85:86], s[12:13], v[113:114]
	v_add_f64_e32 v[95:96], v[12:13], v[95:96]
	v_add_f64_e32 v[167:168], v[12:13], v[167:168]
	;; [unrolled: 1-line block ×3, first 2 shown]
	v_fma_f64 v[187:188], v[85:86], s[0:1], v[67:68]
	v_add_f64_e32 v[99:100], v[12:13], v[99:100]
	v_add_f64_e32 v[171:172], v[12:13], v[171:172]
	v_fma_f64 v[113:114], v[85:86], s[12:13], -v[113:114]
	v_add_f64_e32 v[161:162], v[14:15], v[161:162]
	v_add_f64_e32 v[97:98], v[14:15], v[97:98]
	v_fma_f64 v[111:112], v[85:86], s[30:31], -v[111:112]
	v_fma_f64 v[58:59], v[85:86], s[24:25], -v[58:59]
	v_fma_f64 v[69:70], v[75:76], s[28:29], v[69:70]
	v_mul_f64_e32 v[145:146], s[36:37], v[79:80]
	v_mul_f64_e32 v[79:80], s[10:11], v[79:80]
	v_add_f64_e32 v[24:25], v[24:25], v[28:29]
	v_add_f64_e32 v[26:27], v[26:27], v[30:31]
	v_add_f64_e32 v[32:33], v[14:15], v[32:33]
	v_add_f64_e32 v[34:35], v[12:13], v[34:35]
	v_add_f64_e32 v[89:90], v[14:15], v[89:90]
	v_add_f64_e32 v[91:92], v[12:13], v[91:92]
	v_fma_f64 v[28:29], v[85:86], s[0:1], -v[67:68]
	v_add_f64_e32 v[50:51], v[14:15], v[50:51]
	v_add_f64_e32 v[12:13], v[12:13], v[42:43]
	;; [unrolled: 1-line block ×5, first 2 shown]
	v_fma_f64 v[85:86], v[75:76], s[36:37], v[117:118]
	v_fma_f64 v[42:43], v[71:72], s[30:31], v[125:126]
	;; [unrolled: 1-line block ×8, first 2 shown]
	v_fma_f64 v[123:124], v[71:72], s[12:13], -v[123:124]
	v_fma_f64 v[101:102], v[71:72], s[30:31], -v[125:126]
	v_fma_f64 v[125:126], v[71:72], s[4:5], v[127:128]
	v_add_f64_e32 v[52:53], v[52:53], v[159:160]
	v_add_f64_e32 v[87:88], v[103:104], v[87:88]
	;; [unrolled: 1-line block ×4, first 2 shown]
	v_mul_f64_e32 v[149:150], s[0:1], v[81:82]
	v_add_f64_e32 v[99:100], v[109:110], v[99:100]
	v_add_f64_e32 v[109:110], v[179:180], v[171:172]
	v_mul_f64_e32 v[155:156], s[14:15], v[83:84]
	v_add_f64_e32 v[54:55], v[54:55], v[161:162]
	v_mul_f64_e32 v[151:152], s[24:25], v[81:82]
	v_mul_f64_e32 v[157:158], s[28:29], v[83:84]
	;; [unrolled: 1-line block ×4, first 2 shown]
	v_fma_f64 v[103:104], v[48:49], s[26:27], v[131:132]
	v_mul_f64_e32 v[81:82], s[12:13], v[81:82]
	v_add_f64_e32 v[20:21], v[20:21], v[24:25]
	v_add_f64_e32 v[22:23], v[22:23], v[26:27]
	v_add_f64_e32 v[32:33], v[56:57], v[32:33]
	v_add_f64_e32 v[34:35], v[173:174], v[34:35]
	v_add_f64_e32 v[89:90], v[181:182], v[89:90]
	v_add_f64_e32 v[91:92], v[105:106], v[91:92]
	v_add_f64_e32 v[105:106], v[175:176], v[163:164]
	v_add_f64_e32 v[163:164], v[183:184], v[165:166]
	v_fma_f64 v[26:27], v[71:72], s[0:1], v[129:130]
	v_add_f64_e32 v[165:166], v[185:186], v[169:170]
	v_fma_f64 v[24:25], v[71:72], s[4:5], -v[127:128]
	v_fma_f64 v[127:128], v[71:72], s[0:1], -v[129:130]
	v_fma_f64 v[129:130], v[71:72], s[24:25], v[73:74]
	v_add_f64_e32 v[50:51], v[187:188], v[50:51]
	v_fma_f64 v[71:72], v[71:72], s[24:25], -v[73:74]
	v_add_f64_e32 v[12:13], v[38:39], v[12:13]
	v_add_f64_e32 v[28:29], v[28:29], v[40:41]
	;; [unrolled: 1-line block ×5, first 2 shown]
	v_fma_f64 v[56:57], v[48:49], s[22:23], v[133:134]
	v_fma_f64 v[173:174], v[48:49], s[14:15], v[135:136]
	v_fma_f64 v[58:59], v[46:47], s[24:25], -v[139:140]
	v_fma_f64 v[97:98], v[46:47], s[0:1], v[143:144]
	v_add_f64_e32 v[30:31], v[30:31], v[52:53]
	v_add_f64_e32 v[52:53], v[67:68], v[87:88]
	v_mul_f64_e32 v[73:74], s[10:11], v[83:84]
	v_fma_f64 v[181:182], v[48:49], s[34:35], v[137:138]
	v_fma_f64 v[113:114], v[46:47], s[30:31], v[145:146]
	v_mul_f64_e32 v[159:160], s[22:23], v[83:84]
	v_mul_f64_e32 v[83:84], s[36:37], v[83:84]
	v_fma_f64 v[131:132], v[48:49], s[28:29], v[131:132]
	v_fma_f64 v[93:94], v[46:47], s[12:13], -v[141:142]
	v_fma_f64 v[133:134], v[48:49], s[20:21], v[133:134]
	v_fma_f64 v[135:136], v[48:49], s[18:19], v[135:136]
	;; [unrolled: 1-line block ×3, first 2 shown]
	v_fma_f64 v[111:112], v[46:47], s[0:1], -v[143:144]
	v_fma_f64 v[143:144], v[44:45], s[36:37], v[147:148]
	v_add_f64_e32 v[16:17], v[16:17], v[20:21]
	v_add_f64_e32 v[18:19], v[18:19], v[22:23]
	v_fma_f64 v[20:21], v[48:49], s[16:17], v[77:78]
	v_fma_f64 v[22:23], v[48:49], s[10:11], v[77:78]
	;; [unrolled: 1-line block ×3, first 2 shown]
	v_add_f64_e32 v[34:35], v[85:86], v[34:35]
	v_add_f64_e32 v[42:43], v[42:43], v[89:90]
	;; [unrolled: 1-line block ×8, first 2 shown]
	v_fma_f64 v[141:142], v[46:47], s[4:5], v[79:80]
	v_add_f64_e32 v[89:90], v[119:120], v[95:96]
	v_add_f64_e32 v[95:96], v[121:122], v[99:100]
	;; [unrolled: 1-line block ×4, first 2 shown]
	v_fma_f64 v[48:49], v[46:47], s[24:25], v[139:140]
	v_fma_f64 v[139:140], v[46:47], s[30:31], -v[145:146]
	v_fma_f64 v[46:47], v[46:47], s[4:5], -v[79:80]
	v_add_f64_e32 v[12:13], v[69:70], v[12:13]
	v_add_f64_e32 v[28:29], v[71:72], v[28:29]
	;; [unrolled: 1-line block ×6, first 2 shown]
	v_fma_f64 v[145:146], v[44:45], s[18:19], v[149:150]
	v_fma_f64 v[101:102], v[36:37], s[24:25], v[157:158]
	v_fma_f64 v[79:80], v[44:45], s[34:35], v[147:148]
	v_fma_f64 v[69:70], v[44:45], s[16:17], v[153:154]
	v_fma_f64 v[107:108], v[36:37], s[4:5], v[73:74]
	v_add_f64_e32 v[30:31], v[103:104], v[30:31]
	v_fma_f64 v[147:148], v[44:45], s[14:15], v[149:150]
	v_fma_f64 v[54:55], v[44:45], s[28:29], v[151:152]
	;; [unrolled: 1-line block ×4, first 2 shown]
	v_fma_f64 v[105:106], v[36:37], s[24:25], -v[157:158]
	v_add_f64_e32 v[8:9], v[8:9], v[16:17]
	v_add_f64_e32 v[10:11], v[10:11], v[18:19]
	v_fma_f64 v[16:17], v[36:37], s[0:1], v[155:156]
	v_fma_f64 v[18:19], v[44:45], s[26:27], v[151:152]
	;; [unrolled: 1-line block ×3, first 2 shown]
	v_add_f64_e32 v[34:35], v[56:57], v[34:35]
	v_add_f64_e32 v[42:43], v[77:78], v[42:43]
	;; [unrolled: 1-line block ×5, first 2 shown]
	v_fma_f64 v[81:82], v[36:37], s[0:1], -v[155:156]
	v_add_f64_e32 v[77:78], v[181:182], v[91:92]
	v_add_f64_e32 v[26:27], v[113:114], v[26:27]
	v_fma_f64 v[73:74], v[36:37], s[4:5], -v[73:74]
	v_fma_f64 v[109:110], v[36:37], s[12:13], v[159:160]
	v_fma_f64 v[115:116], v[36:37], s[12:13], -v[159:160]
	v_fma_f64 v[117:118], v[36:37], s[30:31], -v[83:84]
	v_fma_f64 v[83:84], v[36:37], s[30:31], v[83:84]
	v_add_f64_e32 v[36:37], v[131:132], v[52:53]
	v_add_f64_e32 v[87:88], v[20:21], v[99:100]
	;; [unrolled: 1-line block ×12, first 2 shown]
	s_load_b64 s[2:3], s[2:3], 0x0
	v_cmp_gt_u32_e64 s0, 11, v66
	v_add_f64_e32 v[97:98], v[4:5], v[8:9]
	v_add_f64_e32 v[99:100], v[6:7], v[10:11]
	;; [unrolled: 1-line block ×22, first 2 shown]
	v_mad_u32_u24 v67, 0xb0, v66, 0
	s_delay_alu instid0(VALU_DEP_1)
	v_mad_i32_i24 v68, 0xffffff60, v66, v67
	v_add_f64_e32 v[0:1], v[0:1], v[97:98]
	v_add_f64_e32 v[2:3], v[2:3], v[99:100]
	ds_store_b128 v67, v[12:15] offset:32
	ds_store_b128 v67, v[20:23] offset:48
	;; [unrolled: 1-line block ×10, first 2 shown]
	ds_store_b128 v67, v[0:3]
	global_wb scope:SCOPE_SE
	s_wait_dscnt 0x0
	s_wait_kmcnt 0x0
	s_barrier_signal -1
	s_barrier_wait -1
	global_inv scope:SCOPE_SE
	ds_load_b128 v[24:27], v68
	ds_load_b128 v[20:23], v68 offset:880
	ds_load_b128 v[44:47], v68 offset:1936
	;; [unrolled: 1-line block ×9, first 2 shown]
	v_mul_i32_i24_e32 v0, 0xffffff60, v66
                                        ; implicit-def: $vgpr18_vgpr19
                                        ; implicit-def: $vgpr14_vgpr15
                                        ; implicit-def: $vgpr10_vgpr11
                                        ; implicit-def: $vgpr2_vgpr3
	s_delay_alu instid0(VALU_DEP_1)
	v_add_nc_u32_e32 v67, v67, v0
	s_and_saveexec_b32 s1, s0
	s_cbranch_execz .LBB0_15
; %bb.14:
	ds_load_b128 v[4:7], v67 offset:1760
	ds_load_b128 v[0:3], v67 offset:3696
	;; [unrolled: 1-line block ×5, first 2 shown]
.LBB0_15:
	s_wait_alu 0xfffe
	s_or_b32 exec_lo, exec_lo, s1
	v_and_b32_e32 v68, 0xff, v66
	v_add_nc_u16 v69, v66, 55
	s_mov_b32 s4, 0x134454ff
	s_mov_b32 s5, 0x3fee6f0e
	;; [unrolled: 1-line block ×3, first 2 shown]
	v_mul_lo_u16 v68, 0x75, v68
	v_and_b32_e32 v70, 0xff, v69
	s_wait_alu 0xfffe
	s_mov_b32 s10, s4
	s_mov_b32 s14, 0x4755a5e
	;; [unrolled: 1-line block ×3, first 2 shown]
	v_lshrrev_b16 v68, 8, v68
	v_mul_lo_u16 v70, 0x75, v70
	s_mov_b32 s13, 0xbfe2cf23
	s_wait_alu 0xfffe
	s_mov_b32 s12, s14
	s_mov_b32 s16, 0x372fe950
	v_sub_nc_u16 v71, v66, v68
	v_lshrrev_b16 v70, 8, v70
	s_mov_b32 s17, 0x3fd3c6ef
	s_delay_alu instid0(VALU_DEP_2) | instskip(NEXT) | instid1(VALU_DEP_2)
	v_lshrrev_b16 v71, 1, v71
	v_sub_nc_u16 v72, v69, v70
	s_delay_alu instid0(VALU_DEP_2) | instskip(NEXT) | instid1(VALU_DEP_2)
	v_and_b32_e32 v71, 0x7f, v71
	v_lshrrev_b16 v72, 1, v72
	s_delay_alu instid0(VALU_DEP_2) | instskip(NEXT) | instid1(VALU_DEP_2)
	v_add_nc_u16 v68, v71, v68
	v_and_b32_e32 v71, 0x7f, v72
	s_delay_alu instid0(VALU_DEP_2) | instskip(NEXT) | instid1(VALU_DEP_2)
	v_lshrrev_b16 v132, 3, v68
	v_add_nc_u16 v68, v71, v70
	s_delay_alu instid0(VALU_DEP_2) | instskip(NEXT) | instid1(VALU_DEP_2)
	v_mul_lo_u16 v70, v132, 11
	v_lshrrev_b16 v133, 3, v68
	s_delay_alu instid0(VALU_DEP_2) | instskip(NEXT) | instid1(VALU_DEP_2)
	v_sub_nc_u16 v68, v66, v70
	v_mul_lo_u16 v70, v133, 11
	s_delay_alu instid0(VALU_DEP_2) | instskip(NEXT) | instid1(VALU_DEP_2)
	v_and_b32_e32 v134, 0xff, v68
	v_sub_nc_u16 v68, v69, v70
	s_delay_alu instid0(VALU_DEP_2) | instskip(NEXT) | instid1(VALU_DEP_2)
	v_lshlrev_b32_e32 v80, 6, v134
	v_and_b32_e32 v135, 0xff, v68
	s_clause 0x2
	global_load_b128 v[68:71], v80, s[8:9]
	global_load_b128 v[72:75], v80, s[8:9] offset:16
	global_load_b128 v[76:79], v80, s[8:9] offset:32
	v_lshlrev_b32_e32 v96, 6, v135
	s_clause 0x4
	global_load_b128 v[80:83], v80, s[8:9] offset:48
	global_load_b128 v[84:87], v96, s[8:9]
	global_load_b128 v[88:91], v96, s[8:9] offset:16
	global_load_b128 v[92:95], v96, s[8:9] offset:32
	;; [unrolled: 1-line block ×3, first 2 shown]
	global_wb scope:SCOPE_SE
	s_wait_loadcnt_dscnt 0x0
	s_barrier_signal -1
	s_barrier_wait -1
	global_inv scope:SCOPE_SE
	v_mul_f64_e32 v[100:101], v[46:47], v[70:71]
	v_mul_f64_e32 v[102:103], v[50:51], v[74:75]
	;; [unrolled: 1-line block ×16, first 2 shown]
	v_fma_f64 v[44:45], v[44:45], v[68:69], -v[100:101]
	v_fma_f64 v[48:49], v[48:49], v[72:73], -v[102:103]
	;; [unrolled: 1-line block ×3, first 2 shown]
	v_fma_f64 v[50:51], v[50:51], v[72:73], v[74:75]
	v_fma_f64 v[54:55], v[54:55], v[76:77], v[78:79]
	v_fma_f64 v[46:47], v[46:47], v[68:69], v[70:71]
	v_fma_f64 v[56:57], v[56:57], v[80:81], -v[106:107]
	v_fma_f64 v[58:59], v[58:59], v[80:81], v[82:83]
	v_fma_f64 v[32:33], v[32:33], v[88:89], -v[110:111]
	v_fma_f64 v[36:37], v[36:37], v[92:93], -v[112:113]
	v_fma_f64 v[34:35], v[34:35], v[88:89], v[90:91]
	v_fma_f64 v[38:39], v[38:39], v[92:93], v[94:95]
	v_fma_f64 v[28:29], v[28:29], v[84:85], -v[108:109]
	v_fma_f64 v[30:31], v[30:31], v[84:85], v[86:87]
	v_fma_f64 v[40:41], v[40:41], v[96:97], -v[114:115]
	v_fma_f64 v[42:43], v[42:43], v[96:97], v[98:99]
	v_add_f64_e32 v[84:85], v[24:25], v[44:45]
	v_add_f64_e32 v[68:69], v[48:49], v[52:53]
	;; [unrolled: 1-line block ×6, first 2 shown]
	v_add_f64_e64 v[86:87], v[46:47], -v[58:59]
	v_add_f64_e32 v[76:77], v[32:33], v[36:37]
	v_add_f64_e64 v[96:97], v[44:45], -v[56:57]
	v_add_f64_e32 v[80:81], v[34:35], v[38:39]
	v_add_f64_e32 v[92:93], v[20:21], v[28:29]
	v_add_f64_e64 v[88:89], v[50:51], -v[54:55]
	v_add_f64_e32 v[78:79], v[28:29], v[40:41]
	v_add_f64_e32 v[82:83], v[30:31], v[42:43]
	;; [unrolled: 1-line block ×3, first 2 shown]
	v_add_f64_e64 v[98:99], v[30:31], -v[42:43]
	v_add_f64_e64 v[100:101], v[28:29], -v[40:41]
	;; [unrolled: 1-line block ×16, first 2 shown]
	v_fma_f64 v[68:69], v[68:69], -0.5, v[24:25]
	v_fma_f64 v[72:73], v[72:73], -0.5, v[26:27]
	v_add_f64_e32 v[50:51], v[90:91], v[50:51]
	v_fma_f64 v[24:25], v[70:71], -0.5, v[24:25]
	v_add_f64_e64 v[70:71], v[48:49], -v[52:53]
	v_fma_f64 v[26:27], v[74:75], -0.5, v[26:27]
	v_fma_f64 v[76:77], v[76:77], -0.5, v[20:21]
	v_add_f64_e64 v[74:75], v[34:35], -v[38:39]
	v_fma_f64 v[80:81], v[80:81], -0.5, v[22:23]
	;; [unrolled: 3-line block ×3, first 2 shown]
	v_add_f64_e64 v[82:83], v[44:45], -v[48:49]
	v_add_f64_e64 v[44:45], v[48:49], -v[44:45]
	v_add_f64_e32 v[48:49], v[84:85], v[48:49]
	v_add_f64_e32 v[32:33], v[92:93], v[32:33]
	;; [unrolled: 1-line block ×5, first 2 shown]
	v_fma_f64 v[84:85], v[86:87], s[4:5], v[68:69]
	v_fma_f64 v[68:69], v[86:87], s[10:11], v[68:69]
	;; [unrolled: 1-line block ×16, first 2 shown]
	v_add_f64_e32 v[82:83], v[82:83], v[102:103]
	v_add_f64_e32 v[102:103], v[106:107], v[108:109]
	;; [unrolled: 1-line block ×10, first 2 shown]
	v_fma_f64 v[36:37], v[88:89], s[14:15], v[84:85]
	s_wait_alu 0xfffe
	v_fma_f64 v[38:39], v[88:89], s[12:13], v[68:69]
	v_fma_f64 v[52:53], v[70:71], s[12:13], v[92:93]
	;; [unrolled: 1-line block ×15, first 2 shown]
	v_add_f64_e32 v[20:21], v[28:29], v[56:57]
	v_add_f64_e32 v[22:23], v[30:31], v[58:59]
	;; [unrolled: 1-line block ×4, first 2 shown]
	v_fma_f64 v[28:29], v[82:83], s[16:17], v[36:37]
	v_fma_f64 v[32:33], v[82:83], s[16:17], v[38:39]
	v_fma_f64 v[30:31], v[102:103], s[16:17], v[52:53]
	v_fma_f64 v[34:35], v[102:103], s[16:17], v[54:55]
	v_fma_f64 v[36:37], v[44:45], s[16:17], v[48:49]
	v_fma_f64 v[40:41], v[44:45], s[16:17], v[50:51]
	v_fma_f64 v[38:39], v[46:47], s[16:17], v[68:69]
	v_fma_f64 v[42:43], v[46:47], s[16:17], v[70:71]
	v_fma_f64 v[44:45], v[104:105], s[16:17], v[72:73]
	v_fma_f64 v[46:47], v[108:109], s[16:17], v[86:87]
	v_fma_f64 v[48:49], v[104:105], s[16:17], v[74:75]
	v_fma_f64 v[50:51], v[108:109], s[16:17], v[78:79]
	v_fma_f64 v[52:53], v[106:107], s[16:17], v[76:77]
	v_fma_f64 v[56:57], v[106:107], s[16:17], v[84:85]
	v_fma_f64 v[54:55], v[110:111], s[16:17], v[88:89]
	v_fma_f64 v[58:59], v[110:111], s[16:17], v[90:91]
	v_and_b32_e32 v68, 0xffff, v132
	v_and_b32_e32 v69, 0xffff, v133
	v_lshlrev_b32_e32 v70, 4, v134
	s_delay_alu instid0(VALU_DEP_3) | instskip(NEXT) | instid1(VALU_DEP_3)
	v_mul_u32_u24_e32 v68, 0x370, v68
	v_mul_u32_u24_e32 v69, 0x370, v69
	s_delay_alu instid0(VALU_DEP_2) | instskip(SKIP_1) | instid1(VALU_DEP_1)
	v_add3_u32 v68, 0, v68, v70
	v_lshlrev_b32_e32 v70, 4, v135
	v_add3_u32 v69, 0, v69, v70
	ds_store_b128 v68, v[20:23]
	ds_store_b128 v68, v[28:31] offset:176
	ds_store_b128 v68, v[36:39] offset:352
	;; [unrolled: 1-line block ×4, first 2 shown]
	ds_store_b128 v69, v[24:27]
	ds_store_b128 v69, v[44:47] offset:176
	ds_store_b128 v69, v[52:55] offset:352
	;; [unrolled: 1-line block ×4, first 2 shown]
	s_and_saveexec_b32 s1, s0
	s_cbranch_execz .LBB0_17
; %bb.16:
	v_add_nc_u16 v20, v66, 0x6e
	s_delay_alu instid0(VALU_DEP_1) | instskip(NEXT) | instid1(VALU_DEP_1)
	v_and_b32_e32 v21, 0xff, v20
	v_mul_lo_u16 v21, 0x75, v21
	s_delay_alu instid0(VALU_DEP_1) | instskip(NEXT) | instid1(VALU_DEP_1)
	v_lshrrev_b16 v21, 8, v21
	v_sub_nc_u16 v22, v20, v21
	s_delay_alu instid0(VALU_DEP_1) | instskip(NEXT) | instid1(VALU_DEP_1)
	v_lshrrev_b16 v22, 1, v22
	v_and_b32_e32 v22, 0x7f, v22
	s_delay_alu instid0(VALU_DEP_1) | instskip(NEXT) | instid1(VALU_DEP_1)
	v_add_nc_u16 v21, v22, v21
	v_lshrrev_b16 v21, 3, v21
	s_delay_alu instid0(VALU_DEP_1) | instskip(NEXT) | instid1(VALU_DEP_1)
	v_mul_lo_u16 v21, v21, 11
	v_sub_nc_u16 v20, v20, v21
	s_delay_alu instid0(VALU_DEP_1) | instskip(NEXT) | instid1(VALU_DEP_1)
	v_and_b32_e32 v52, 0xff, v20
	v_lshlrev_b32_e32 v32, 6, v52
	s_clause 0x3
	global_load_b128 v[20:23], v32, s[8:9] offset:16
	global_load_b128 v[24:27], v32, s[8:9]
	global_load_b128 v[28:31], v32, s[8:9] offset:48
	global_load_b128 v[32:35], v32, s[8:9] offset:32
	s_wait_loadcnt 0x3
	v_mul_f64_e32 v[36:37], v[8:9], v[22:23]
	s_wait_loadcnt 0x2
	v_mul_f64_e32 v[38:39], v[0:1], v[26:27]
	;; [unrolled: 2-line block ×4, first 2 shown]
	v_mul_f64_e32 v[22:23], v[10:11], v[22:23]
	v_mul_f64_e32 v[34:35], v[14:15], v[34:35]
	v_mul_f64_e32 v[26:27], v[2:3], v[26:27]
	v_mul_f64_e32 v[30:31], v[18:19], v[30:31]
	v_fma_f64 v[10:11], v[10:11], v[20:21], v[36:37]
	v_fma_f64 v[2:3], v[2:3], v[24:25], v[38:39]
	;; [unrolled: 1-line block ×4, first 2 shown]
	v_fma_f64 v[8:9], v[8:9], v[20:21], -v[22:23]
	v_fma_f64 v[12:13], v[12:13], v[32:33], -v[34:35]
	;; [unrolled: 1-line block ×4, first 2 shown]
	v_add_f64_e32 v[32:33], v[6:7], v[2:3]
	v_add_f64_e32 v[20:21], v[2:3], v[18:19]
	;; [unrolled: 1-line block ×3, first 2 shown]
	v_add_f64_e64 v[36:37], v[10:11], -v[14:15]
	v_add_f64_e32 v[24:25], v[8:9], v[12:13]
	v_add_f64_e32 v[34:35], v[4:5], v[0:1]
	;; [unrolled: 1-line block ×3, first 2 shown]
	v_add_f64_e64 v[28:29], v[0:1], -v[16:17]
	v_add_f64_e64 v[30:31], v[8:9], -v[12:13]
	;; [unrolled: 1-line block ×8, first 2 shown]
	v_fma_f64 v[20:21], v[20:21], -0.5, v[6:7]
	v_fma_f64 v[6:7], v[22:23], -0.5, v[6:7]
	v_add_f64_e64 v[22:23], v[2:3], -v[18:19]
	v_fma_f64 v[24:25], v[24:25], -0.5, v[4:5]
	v_add_f64_e32 v[8:9], v[34:35], v[8:9]
	v_fma_f64 v[4:5], v[26:27], -0.5, v[4:5]
	v_add_f64_e64 v[26:27], v[10:11], -v[2:3]
	v_add_f64_e64 v[2:3], v[2:3], -v[10:11]
	v_add_f64_e32 v[10:11], v[32:33], v[10:11]
	v_fma_f64 v[32:33], v[30:31], s[10:11], v[20:21]
	v_fma_f64 v[20:21], v[30:31], s[4:5], v[20:21]
	;; [unrolled: 1-line block ×8, first 2 shown]
	v_add_f64_e32 v[26:27], v[26:27], v[38:39]
	v_add_f64_e32 v[38:39], v[2:3], v[40:41]
	;; [unrolled: 1-line block ×6, first 2 shown]
	v_fma_f64 v[10:11], v[28:29], s[14:15], v[32:33]
	v_fma_f64 v[12:13], v[28:29], s[12:13], v[20:21]
	;; [unrolled: 1-line block ×8, first 2 shown]
	v_add_f64_e32 v[2:3], v[0:1], v[18:19]
	v_add_f64_e32 v[0:1], v[8:9], v[16:17]
	v_fma_f64 v[6:7], v[26:27], s[16:17], v[10:11]
	v_fma_f64 v[10:11], v[26:27], s[16:17], v[12:13]
	v_fma_f64 v[14:15], v[38:39], s[16:17], v[14:15]
	v_fma_f64 v[18:19], v[38:39], s[16:17], v[20:21]
	v_fma_f64 v[16:17], v[42:43], s[16:17], v[28:29]
	v_fma_f64 v[8:9], v[40:41], s[16:17], v[30:31]
	v_fma_f64 v[4:5], v[40:41], s[16:17], v[4:5]
	v_fma_f64 v[12:13], v[42:43], s[16:17], v[22:23]
	v_lshl_add_u32 v20, v52, 4, 0
	ds_store_b128 v20, v[0:3] offset:8800
	ds_store_b128 v20, v[16:19] offset:8976
	;; [unrolled: 1-line block ×5, first 2 shown]
.LBB0_17:
	s_wait_alu 0xfffe
	s_or_b32 exec_lo, exec_lo, s1
	global_wb scope:SCOPE_SE
	s_wait_dscnt 0x0
	s_barrier_signal -1
	s_barrier_wait -1
	global_inv scope:SCOPE_SE
	s_and_saveexec_b32 s0, vcc_lo
	s_cbranch_execz .LBB0_19
; %bb.18:
	v_mul_u32_u24_e32 v0, 10, v66
	s_mov_b32 s24, 0x640f44db
	s_mov_b32 s0, 0xd9c712b6
	;; [unrolled: 1-line block ×4, first 2 shown]
	v_lshlrev_b32_e32 v0, 4, v0
	s_mov_b32 s12, 0xbb3a28a1
	s_mov_b32 s14, 0x9bcd5057
	;; [unrolled: 1-line block ×4, first 2 shown]
	s_clause 0x9
	global_load_b128 v[32:35], v0, s[8:9] offset:704
	global_load_b128 v[16:19], v0, s[8:9] offset:768
	;; [unrolled: 1-line block ×10, first 2 shown]
	ds_load_b128 v[44:47], v67 offset:880
	ds_load_b128 v[48:51], v67 offset:5280
	;; [unrolled: 1-line block ×3, first 2 shown]
	v_lshl_add_u32 v0, v66, 4, 0
	ds_load_b128 v[56:59], v67 offset:4400
	ds_load_b128 v[68:71], v67 offset:3520
	;; [unrolled: 1-line block ×7, first 2 shown]
	ds_load_b128 v[0:3], v67
	s_mov_b32 s28, 0x43842ef
	s_mov_b32 s1, 0x3fda9628
	;; [unrolled: 1-line block ×9, first 2 shown]
	s_wait_alu 0xfffe
	s_mov_b32 s26, s12
	s_mov_b32 s20, s18
	;; [unrolled: 1-line block ×12, first 2 shown]
	s_wait_alu 0xfffe
	s_mov_b32 s22, s16
	s_wait_loadcnt_dscnt 0x90a
	v_mul_f64_e32 v[92:93], v[32:33], v[46:47]
	v_mul_f64_e32 v[46:47], v[34:35], v[46:47]
	s_wait_loadcnt_dscnt 0x807
	v_mul_f64_e32 v[66:67], v[16:17], v[58:59]
	s_wait_loadcnt 0x7
	v_mul_f64_e32 v[94:95], v[12:13], v[50:51]
	s_wait_loadcnt_dscnt 0x505
	v_mul_f64_e32 v[98:99], v[8:9], v[74:75]
	v_mul_f64_e32 v[96:97], v[20:21], v[70:71]
	s_wait_loadcnt_dscnt 0x304
	v_mul_f64_e32 v[102:103], v[4:5], v[78:79]
	s_wait_loadcnt_dscnt 0x203
	;; [unrolled: 2-line block ×4, first 2 shown]
	v_mul_f64_e32 v[108:109], v[40:41], v[90:91]
	v_mul_f64_e32 v[82:83], v[30:31], v[82:83]
	;; [unrolled: 1-line block ×5, first 2 shown]
	v_fma_f64 v[92:93], v[34:35], v[44:45], v[92:93]
	v_fma_f64 v[44:45], v[44:45], v[32:33], -v[46:47]
	v_mul_f64_e32 v[46:47], v[18:19], v[58:59]
	v_mul_f64_e32 v[58:59], v[22:23], v[70:71]
	;; [unrolled: 1-line block ×6, first 2 shown]
	v_fma_f64 v[34:35], v[18:19], v[56:57], v[66:67]
	v_fma_f64 v[32:33], v[14:15], v[48:49], v[94:95]
	;; [unrolled: 1-line block ×7, first 2 shown]
	v_fma_f64 v[28:29], v[80:81], v[28:29], -v[82:83]
	v_fma_f64 v[22:23], v[22:23], v[68:69], v[96:97]
	v_fma_f64 v[26:27], v[26:27], v[52:53], v[100:101]
	v_fma_f64 v[24:25], v[52:53], v[24:25], -v[54:55]
	v_fma_f64 v[12:13], v[48:49], v[12:13], -v[50:51]
	s_wait_dscnt 0x0
	v_add_f64_e32 v[38:39], v[2:3], v[92:93]
	v_add_f64_e32 v[42:43], v[44:45], v[0:1]
	v_fma_f64 v[16:17], v[56:57], v[16:17], -v[46:47]
	v_fma_f64 v[20:21], v[68:69], v[20:21], -v[58:59]
	;; [unrolled: 1-line block ×6, first 2 shown]
	v_add_f64_e32 v[46:47], v[34:35], v[32:33]
	v_add_f64_e64 v[56:57], v[34:35], -v[32:33]
	v_add_f64_e32 v[52:53], v[30:31], v[10:11]
	v_add_f64_e64 v[68:69], v[30:31], -v[10:11]
	;; [unrolled: 2-line block ×5, first 2 shown]
	v_add_f64_e32 v[30:31], v[30:31], v[38:39]
	v_add_f64_e32 v[38:39], v[28:29], v[42:43]
	v_add_f64_e64 v[42:43], v[16:17], -v[12:13]
	v_add_f64_e32 v[80:81], v[16:17], v[12:13]
	v_add_f64_e64 v[72:73], v[20:21], -v[8:9]
	v_add_f64_e64 v[74:75], v[24:25], -v[4:5]
	v_add_f64_e32 v[84:85], v[24:25], v[4:5]
	v_add_f64_e64 v[78:79], v[44:45], -v[40:41]
	v_add_f64_e32 v[44:45], v[44:45], v[40:41]
	v_add_f64_e32 v[82:83], v[20:21], v[8:9]
	v_add_f64_e64 v[76:77], v[28:29], -v[36:37]
	v_add_f64_e32 v[28:29], v[28:29], v[36:37]
	v_mul_f64_e32 v[106:107], s[0:1], v[46:47]
	v_mul_f64_e32 v[92:93], s[8:9], v[52:53]
	s_wait_alu 0xfffe
	v_mul_f64_e32 v[102:103], s[22:23], v[68:69]
	v_mul_f64_e32 v[94:95], s[14:15], v[54:55]
	;; [unrolled: 1-line block ×24, first 2 shown]
	v_add_f64_e32 v[26:27], v[26:27], v[30:31]
	v_add_f64_e32 v[24:25], v[24:25], v[38:39]
	v_mul_f64_e32 v[38:39], s[10:11], v[54:55]
	v_mul_f64_e32 v[54:55], s[8:9], v[54:55]
	v_mul_f64_e32 v[30:31], s[24:25], v[52:53]
	v_mul_f64_e32 v[52:53], s[0:1], v[52:53]
	v_mul_f64_e32 v[90:91], s[10:11], v[50:51]
	v_mul_f64_e32 v[100:101], s[26:27], v[66:67]
	v_mul_f64_e32 v[134:135], s[30:31], v[66:67]
	v_mul_f64_e32 v[50:51], s[24:25], v[50:51]
	v_mul_f64_e32 v[66:67], s[34:35], v[66:67]
	v_mul_f64_e32 v[108:109], s[14:15], v[48:49]
	v_mul_f64_e32 v[124:125], s[8:9], v[48:49]
	v_mul_f64_e32 v[156:157], s[24:25], v[48:49]
	v_fma_f64 v[166:167], v[28:29], s[8:9], v[102:103]
	v_fma_f64 v[162:163], v[78:79], s[18:19], v[94:95]
	;; [unrolled: 1-line block ×4, first 2 shown]
	v_fma_f64 v[104:105], v[44:45], s[14:15], -v[104:105]
	v_fma_f64 v[178:179], v[44:45], s[10:11], v[120:121]
	v_fma_f64 v[120:121], v[44:45], s[10:11], -v[120:121]
	v_fma_f64 v[180:181], v[78:79], s[28:29], v[128:129]
	v_fma_f64 v[128:129], v[78:79], s[34:35], v[128:129]
	;; [unrolled: 1-line block ×5, first 2 shown]
	v_fma_f64 v[138:139], v[44:45], s[0:1], -v[138:139]
	v_fma_f64 v[182:183], v[44:45], s[24:25], v[130:131]
	v_fma_f64 v[130:131], v[44:45], s[24:25], -v[130:131]
	v_fma_f64 v[190:191], v[44:45], s[8:9], v[70:71]
	v_fma_f64 v[44:45], v[44:45], s[8:9], -v[70:71]
	v_fma_f64 v[102:103], v[28:29], s[8:9], -v[102:103]
	v_fma_f64 v[170:171], v[74:75], s[22:23], v[110:111]
	v_fma_f64 v[176:177], v[84:85], s[8:9], v[116:117]
	;; [unrolled: 1-line block ×4, first 2 shown]
	v_fma_f64 v[140:141], v[28:29], s[14:15], -v[140:141]
	v_fma_f64 v[194:195], v[76:77], s[12:13], v[144:145]
	v_add_f64_e32 v[22:23], v[22:23], v[26:27]
	v_add_f64_e32 v[20:21], v[20:21], v[24:25]
	v_fma_f64 v[174:175], v[78:79], s[12:13], v[38:39]
	v_fma_f64 v[38:39], v[78:79], s[26:27], v[38:39]
	;; [unrolled: 1-line block ×4, first 2 shown]
	v_mul_f64_e32 v[24:25], s[26:27], v[58:59]
	v_fma_f64 v[58:59], v[76:77], s[16:17], v[92:93]
	v_fma_f64 v[92:93], v[76:77], s[22:23], v[92:93]
	;; [unrolled: 1-line block ×5, first 2 shown]
	v_fma_f64 v[110:111], v[84:85], s[8:9], -v[116:117]
	v_fma_f64 v[116:117], v[76:77], s[20:21], v[132:133]
	v_fma_f64 v[132:133], v[76:77], s[18:19], v[132:133]
	;; [unrolled: 1-line block ×4, first 2 shown]
	v_fma_f64 v[148:149], v[28:29], s[10:11], -v[148:149]
	v_fma_f64 v[198:199], v[76:77], s[30:31], v[52:53]
	v_fma_f64 v[52:53], v[76:77], s[4:5], v[52:53]
	;; [unrolled: 1-line block ×3, first 2 shown]
	v_add_f64_e32 v[94:95], v[2:3], v[94:95]
	v_add_f64_e32 v[104:105], v[0:1], v[104:105]
	;; [unrolled: 1-line block ×6, first 2 shown]
	v_mul_f64_e32 v[88:89], s[0:1], v[48:49]
	v_add_f64_e32 v[130:131], v[0:1], v[130:131]
	v_fma_f64 v[26:27], v[74:75], s[12:13], v[90:91]
	v_fma_f64 v[164:165], v[84:85], s[10:11], v[100:101]
	;; [unrolled: 1-line block ×3, first 2 shown]
	v_mul_f64_e32 v[48:49], s[10:11], v[48:49]
	v_fma_f64 v[100:101], v[84:85], s[10:11], -v[100:101]
	v_mul_f64_e32 v[112:113], s[30:31], v[56:57]
	v_mul_f64_e32 v[122:123], s[10:11], v[46:47]
	;; [unrolled: 1-line block ×4, first 2 shown]
	v_add_f64_e32 v[22:23], v[34:35], v[22:23]
	v_add_f64_e32 v[16:17], v[16:17], v[20:21]
	v_fma_f64 v[20:21], v[28:29], s[24:25], -v[118:119]
	v_fma_f64 v[28:29], v[28:29], s[0:1], -v[68:69]
	v_add_f64_e32 v[68:69], v[2:3], v[162:163]
	v_add_f64_e32 v[162:163], v[0:1], v[168:169]
	;; [unrolled: 1-line block ×13, first 2 shown]
	v_fma_f64 v[34:35], v[74:75], s[4:5], v[126:127]
	v_fma_f64 v[44:45], v[74:75], s[18:19], v[142:143]
	v_fma_f64 v[54:55], v[84:85], s[14:15], -v[146:147]
	v_fma_f64 v[118:119], v[84:85], s[0:1], v[134:135]
	v_add_f64_e32 v[92:93], v[92:93], v[94:95]
	v_add_f64_e32 v[94:95], v[102:103], v[104:105]
	v_fma_f64 v[126:127], v[74:75], s[30:31], v[126:127]
	v_fma_f64 v[134:135], v[84:85], s[0:1], -v[134:135]
	v_fma_f64 v[200:201], v[82:83], s[0:1], v[98:99]
	v_fma_f64 v[98:99], v[82:83], s[0:1], -v[98:99]
	v_mul_f64_e32 v[96:97], s[34:35], v[56:57]
	v_add_f64_e32 v[130:131], v[140:141], v[130:131]
	v_fma_f64 v[140:141], v[82:83], s[8:9], -v[152:153]
	v_mul_f64_e32 v[150:151], s[26:27], v[56:57]
	v_mul_f64_e32 v[86:87], s[24:25], v[46:47]
	;; [unrolled: 1-line block ×4, first 2 shown]
	v_add_f64_e32 v[22:23], v[32:33], v[22:23]
	v_add_f64_e32 v[12:13], v[12:13], v[16:17]
	;; [unrolled: 1-line block ×13, first 2 shown]
	v_fma_f64 v[16:17], v[74:75], s[20:21], v[142:143]
	v_fma_f64 v[32:33], v[84:85], s[14:15], v[146:147]
	v_add_f64_e32 v[132:133], v[194:195], v[182:183]
	v_add_f64_e32 v[136:137], v[196:197], v[184:185]
	v_fma_f64 v[142:143], v[74:75], s[28:29], v[50:51]
	v_fma_f64 v[50:51], v[74:75], s[34:35], v[50:51]
	;; [unrolled: 1-line block ×3, first 2 shown]
	v_add_f64_e32 v[76:77], v[76:77], v[188:189]
	v_fma_f64 v[66:67], v[84:85], s[24:25], -v[66:67]
	v_add_f64_e32 v[2:3], v[52:53], v[2:3]
	v_add_f64_e32 v[0:1], v[28:29], v[0:1]
	;; [unrolled: 1-line block ×3, first 2 shown]
	v_fma_f64 v[28:29], v[72:73], s[20:21], v[108:109]
	v_fma_f64 v[52:53], v[82:83], s[14:15], -v[114:115]
	v_fma_f64 v[144:145], v[72:73], s[34:35], v[156:157]
	v_fma_f64 v[148:149], v[82:83], s[24:25], v[160:161]
	;; [unrolled: 1-line block ×3, first 2 shown]
	v_fma_f64 v[24:25], v[82:83], s[10:11], -v[24:25]
	v_fma_f64 v[146:147], v[72:73], s[4:5], v[88:89]
	v_fma_f64 v[88:89], v[72:73], s[30:31], v[88:89]
	;; [unrolled: 1-line block ×5, first 2 shown]
	v_fma_f64 v[96:97], v[80:81], s[24:25], -v[96:97]
	v_add_f64_e32 v[18:19], v[18:19], v[22:23]
	v_add_f64_e32 v[8:9], v[8:9], v[12:13]
	v_fma_f64 v[12:13], v[72:73], s[18:19], v[108:109]
	v_fma_f64 v[22:23], v[82:83], s[14:15], v[114:115]
	;; [unrolled: 1-line block ×5, first 2 shown]
	v_fma_f64 v[156:157], v[82:83], s[24:25], -v[160:161]
	v_add_f64_e32 v[82:83], v[170:171], v[102:103]
	v_add_f64_e32 v[70:71], v[176:177], v[70:71]
	;; [unrolled: 1-line block ×7, first 2 shown]
	v_fma_f64 v[124:125], v[72:73], s[16:17], v[124:125]
	v_add_f64_e32 v[26:27], v[26:27], v[58:59]
	v_add_f64_e32 v[58:59], v[164:165], v[68:69]
	;; [unrolled: 1-line block ×6, first 2 shown]
	v_fma_f64 v[160:161], v[72:73], s[12:13], v[48:49]
	v_fma_f64 v[48:49], v[72:73], s[26:27], v[48:49]
	v_add_f64_e32 v[72:73], v[100:101], v[94:95]
	v_add_f64_e32 v[16:17], v[16:17], v[132:133]
	;; [unrolled: 1-line block ×7, first 2 shown]
	v_fma_f64 v[50:51], v[80:81], s[0:1], v[112:113]
	v_fma_f64 v[66:67], v[42:43], s[30:31], v[106:107]
	v_fma_f64 v[76:77], v[80:81], s[0:1], -v[112:113]
	v_fma_f64 v[94:95], v[42:43], s[12:13], v[122:123]
	v_fma_f64 v[112:113], v[42:43], s[22:23], v[154:155]
	v_fma_f64 v[116:117], v[80:81], s[8:9], -v[158:159]
	v_fma_f64 v[102:103], v[42:43], s[26:27], v[122:123]
	v_add_f64_e32 v[14:15], v[14:15], v[18:19]
	v_add_f64_e32 v[4:5], v[4:5], v[8:9]
	v_fma_f64 v[18:19], v[42:43], s[4:5], v[106:107]
	v_fma_f64 v[104:105], v[80:81], s[10:11], -v[150:151]
	v_fma_f64 v[106:107], v[42:43], s[16:17], v[154:155]
	v_fma_f64 v[118:119], v[42:43], s[18:19], v[46:47]
	;; [unrolled: 1-line block ×4, first 2 shown]
	v_add_f64_e32 v[12:13], v[12:13], v[82:83]
	v_add_f64_e32 v[22:23], v[22:23], v[70:71]
	;; [unrolled: 1-line block ×7, first 2 shown]
	v_fma_f64 v[46:47], v[80:81], s[14:15], -v[56:57]
	v_add_f64_e32 v[8:9], v[146:147], v[26:27]
	v_add_f64_e32 v[26:27], v[200:201], v[58:59]
	v_add_f64_e32 v[56:57], v[88:89], v[68:69]
	v_add_f64_e32 v[34:35], v[114:115], v[38:39]
	v_add_f64_e32 v[38:39], v[124:125], v[78:79]
	v_add_f64_e32 v[54:55], v[140:141], v[90:91]
	v_fma_f64 v[100:101], v[80:81], s[10:11], v[150:151]
	v_fma_f64 v[110:111], v[80:81], s[8:9], v[158:159]
	v_add_f64_e32 v[58:59], v[98:99], v[72:73]
	v_add_f64_e32 v[68:69], v[144:145], v[16:17]
	;; [unrolled: 1-line block ×7, first 2 shown]
	v_mul_lo_u32 v80, s3, v62
	v_mul_lo_u32 v81, s2, v63
	v_mad_co_u64_u32 v[62:63], null, s2, v62, 0
	v_add_f64_e32 v[74:75], v[10:11], v[14:15]
	v_add_f64_e32 v[4:5], v[36:37], v[4:5]
	s_delay_alu instid0(VALU_DEP_3)
	v_add3_u32 v63, v63, v81, v80
	v_add_f64_e32 v[14:15], v[18:19], v[12:13]
	v_add_f64_e32 v[12:13], v[50:51], v[22:23]
	;; [unrolled: 1-line block ×7, first 2 shown]
	v_lshlrev_b64_e32 v[44:45], 4, v[62:63]
	v_add_f64_e32 v[2:3], v[84:85], v[8:9]
	v_add_f64_e32 v[0:1], v[190:191], v[26:27]
	;; [unrolled: 1-line block ×11, first 2 shown]
	v_add_co_u32 v48, vcc_lo, s6, v44
	v_add_f64_e32 v[38:39], v[118:119], v[70:71]
	s_wait_alu 0xfffd
	v_add_co_ci_u32_e32 v49, vcc_lo, s7, v45, vcc_lo
	v_lshlrev_b64_e32 v[44:45], 4, v[64:65]
	v_add_f64_e32 v[6:7], v[6:7], v[74:75]
	v_add_f64_e32 v[4:5], v[40:41], v[4:5]
	;; [unrolled: 1-line block ×3, first 2 shown]
	v_lshlrev_b64_e32 v[46:47], 4, v[60:61]
	s_delay_alu instid0(VALU_DEP_1) | instskip(SKIP_1) | instid1(VALU_DEP_2)
	v_add_co_u32 v46, vcc_lo, v48, v46
	s_wait_alu 0xfffd
	v_add_co_ci_u32_e32 v47, vcc_lo, v49, v47, vcc_lo
	s_delay_alu instid0(VALU_DEP_2) | instskip(SKIP_1) | instid1(VALU_DEP_2)
	v_add_co_u32 v44, vcc_lo, v46, v44
	s_wait_alu 0xfffd
	v_add_co_ci_u32_e32 v45, vcc_lo, v47, v45, vcc_lo
	s_clause 0xa
	global_store_b128 v[44:45], v[28:31], off offset:1760
	global_store_b128 v[44:45], v[24:27], off offset:2640
	;; [unrolled: 1-line block ×8, first 2 shown]
	global_store_b128 v[44:45], v[4:7], off
	global_store_b128 v[44:45], v[40:43], off offset:880
	global_store_b128 v[44:45], v[36:39], off offset:8800
.LBB0_19:
	s_nop 0
	s_sendmsg sendmsg(MSG_DEALLOC_VGPRS)
	s_endpgm
	.section	.rodata,"a",@progbits
	.p2align	6, 0x0
	.amdhsa_kernel fft_rtc_fwd_len605_factors_11_5_11_wgs_55_tpt_55_dp_op_CI_CI_unitstride_sbrr_dirReg
		.amdhsa_group_segment_fixed_size 0
		.amdhsa_private_segment_fixed_size 0
		.amdhsa_kernarg_size 104
		.amdhsa_user_sgpr_count 2
		.amdhsa_user_sgpr_dispatch_ptr 0
		.amdhsa_user_sgpr_queue_ptr 0
		.amdhsa_user_sgpr_kernarg_segment_ptr 1
		.amdhsa_user_sgpr_dispatch_id 0
		.amdhsa_user_sgpr_private_segment_size 0
		.amdhsa_wavefront_size32 1
		.amdhsa_uses_dynamic_stack 0
		.amdhsa_enable_private_segment 0
		.amdhsa_system_sgpr_workgroup_id_x 1
		.amdhsa_system_sgpr_workgroup_id_y 0
		.amdhsa_system_sgpr_workgroup_id_z 0
		.amdhsa_system_sgpr_workgroup_info 0
		.amdhsa_system_vgpr_workitem_id 0
		.amdhsa_next_free_vgpr 202
		.amdhsa_next_free_sgpr 39
		.amdhsa_reserve_vcc 1
		.amdhsa_float_round_mode_32 0
		.amdhsa_float_round_mode_16_64 0
		.amdhsa_float_denorm_mode_32 3
		.amdhsa_float_denorm_mode_16_64 3
		.amdhsa_fp16_overflow 0
		.amdhsa_workgroup_processor_mode 1
		.amdhsa_memory_ordered 1
		.amdhsa_forward_progress 0
		.amdhsa_round_robin_scheduling 0
		.amdhsa_exception_fp_ieee_invalid_op 0
		.amdhsa_exception_fp_denorm_src 0
		.amdhsa_exception_fp_ieee_div_zero 0
		.amdhsa_exception_fp_ieee_overflow 0
		.amdhsa_exception_fp_ieee_underflow 0
		.amdhsa_exception_fp_ieee_inexact 0
		.amdhsa_exception_int_div_zero 0
	.end_amdhsa_kernel
	.text
.Lfunc_end0:
	.size	fft_rtc_fwd_len605_factors_11_5_11_wgs_55_tpt_55_dp_op_CI_CI_unitstride_sbrr_dirReg, .Lfunc_end0-fft_rtc_fwd_len605_factors_11_5_11_wgs_55_tpt_55_dp_op_CI_CI_unitstride_sbrr_dirReg
                                        ; -- End function
	.section	.AMDGPU.csdata,"",@progbits
; Kernel info:
; codeLenInByte = 8736
; NumSgprs: 41
; NumVgprs: 202
; ScratchSize: 0
; MemoryBound: 1
; FloatMode: 240
; IeeeMode: 1
; LDSByteSize: 0 bytes/workgroup (compile time only)
; SGPRBlocks: 5
; VGPRBlocks: 25
; NumSGPRsForWavesPerEU: 41
; NumVGPRsForWavesPerEU: 202
; Occupancy: 7
; WaveLimiterHint : 1
; COMPUTE_PGM_RSRC2:SCRATCH_EN: 0
; COMPUTE_PGM_RSRC2:USER_SGPR: 2
; COMPUTE_PGM_RSRC2:TRAP_HANDLER: 0
; COMPUTE_PGM_RSRC2:TGID_X_EN: 1
; COMPUTE_PGM_RSRC2:TGID_Y_EN: 0
; COMPUTE_PGM_RSRC2:TGID_Z_EN: 0
; COMPUTE_PGM_RSRC2:TIDIG_COMP_CNT: 0
	.text
	.p2alignl 7, 3214868480
	.fill 96, 4, 3214868480
	.type	__hip_cuid_65282e7914c68047,@object ; @__hip_cuid_65282e7914c68047
	.section	.bss,"aw",@nobits
	.globl	__hip_cuid_65282e7914c68047
__hip_cuid_65282e7914c68047:
	.byte	0                               ; 0x0
	.size	__hip_cuid_65282e7914c68047, 1

	.ident	"AMD clang version 19.0.0git (https://github.com/RadeonOpenCompute/llvm-project roc-6.4.0 25133 c7fe45cf4b819c5991fe208aaa96edf142730f1d)"
	.section	".note.GNU-stack","",@progbits
	.addrsig
	.addrsig_sym __hip_cuid_65282e7914c68047
	.amdgpu_metadata
---
amdhsa.kernels:
  - .args:
      - .actual_access:  read_only
        .address_space:  global
        .offset:         0
        .size:           8
        .value_kind:     global_buffer
      - .offset:         8
        .size:           8
        .value_kind:     by_value
      - .actual_access:  read_only
        .address_space:  global
        .offset:         16
        .size:           8
        .value_kind:     global_buffer
      - .actual_access:  read_only
        .address_space:  global
        .offset:         24
        .size:           8
        .value_kind:     global_buffer
      - .actual_access:  read_only
        .address_space:  global
        .offset:         32
        .size:           8
        .value_kind:     global_buffer
      - .offset:         40
        .size:           8
        .value_kind:     by_value
      - .actual_access:  read_only
        .address_space:  global
        .offset:         48
        .size:           8
        .value_kind:     global_buffer
      - .actual_access:  read_only
        .address_space:  global
        .offset:         56
        .size:           8
        .value_kind:     global_buffer
      - .offset:         64
        .size:           4
        .value_kind:     by_value
      - .actual_access:  read_only
        .address_space:  global
        .offset:         72
        .size:           8
        .value_kind:     global_buffer
      - .actual_access:  read_only
        .address_space:  global
        .offset:         80
        .size:           8
        .value_kind:     global_buffer
      - .actual_access:  read_only
        .address_space:  global
        .offset:         88
        .size:           8
        .value_kind:     global_buffer
      - .actual_access:  write_only
        .address_space:  global
        .offset:         96
        .size:           8
        .value_kind:     global_buffer
    .group_segment_fixed_size: 0
    .kernarg_segment_align: 8
    .kernarg_segment_size: 104
    .language:       OpenCL C
    .language_version:
      - 2
      - 0
    .max_flat_workgroup_size: 55
    .name:           fft_rtc_fwd_len605_factors_11_5_11_wgs_55_tpt_55_dp_op_CI_CI_unitstride_sbrr_dirReg
    .private_segment_fixed_size: 0
    .sgpr_count:     41
    .sgpr_spill_count: 0
    .symbol:         fft_rtc_fwd_len605_factors_11_5_11_wgs_55_tpt_55_dp_op_CI_CI_unitstride_sbrr_dirReg.kd
    .uniform_work_group_size: 1
    .uses_dynamic_stack: false
    .vgpr_count:     202
    .vgpr_spill_count: 0
    .wavefront_size: 32
    .workgroup_processor_mode: 1
amdhsa.target:   amdgcn-amd-amdhsa--gfx1201
amdhsa.version:
  - 1
  - 2
...

	.end_amdgpu_metadata
